;; amdgpu-corpus repo=ROCm/rocFFT kind=compiled arch=gfx906 opt=O3
	.text
	.amdgcn_target "amdgcn-amd-amdhsa--gfx906"
	.amdhsa_code_object_version 6
	.protected	bluestein_single_fwd_len875_dim1_dp_op_CI_CI ; -- Begin function bluestein_single_fwd_len875_dim1_dp_op_CI_CI
	.globl	bluestein_single_fwd_len875_dim1_dp_op_CI_CI
	.p2align	8
	.type	bluestein_single_fwd_len875_dim1_dp_op_CI_CI,@function
bluestein_single_fwd_len875_dim1_dp_op_CI_CI: ; @bluestein_single_fwd_len875_dim1_dp_op_CI_CI
; %bb.0:
	s_load_dwordx4 s[0:3], s[4:5], 0x28
	v_mul_u32_u24_e32 v1, 0x177, v0
	v_add_u32_sdwa v76, s6, v1 dst_sel:DWORD dst_unused:UNUSED_PAD src0_sel:DWORD src1_sel:WORD_1
	v_mov_b32_e32 v77, 0
	s_waitcnt lgkmcnt(0)
	v_cmp_gt_u64_e32 vcc, s[0:1], v[76:77]
	s_and_saveexec_b64 s[0:1], vcc
	s_cbranch_execz .LBB0_15
; %bb.1:
	s_load_dwordx2 s[14:15], s[4:5], 0x0
	s_load_dwordx2 s[12:13], s[4:5], 0x38
	s_movk_i32 s0, 0xaf
	v_mul_lo_u16_sdwa v1, v1, s0 dst_sel:DWORD dst_unused:UNUSED_PAD src0_sel:WORD_1 src1_sel:DWORD
	v_sub_u16_e32 v77, v0, v1
	s_movk_i32 s0, 0x7d
	v_cmp_gt_u16_e64 s[0:1], s0, v77
	v_lshlrev_b32_e32 v78, 4, v77
	s_and_saveexec_b64 s[6:7], s[0:1]
	s_cbranch_execz .LBB0_3
; %bb.2:
	s_load_dwordx2 s[8:9], s[4:5], 0x18
	s_waitcnt lgkmcnt(0)
	s_load_dwordx4 s[8:11], s[8:9], 0x0
	s_waitcnt lgkmcnt(0)
	v_mad_u64_u32 v[0:1], s[16:17], s10, v76, 0
	v_mad_u64_u32 v[2:3], s[16:17], s8, v77, 0
	;; [unrolled: 1-line block ×4, first 2 shown]
	v_mov_b32_e32 v1, v4
	v_lshlrev_b64 v[0:1], 4, v[0:1]
	v_mov_b32_e32 v3, v5
	v_mov_b32_e32 v6, s3
	v_lshlrev_b64 v[2:3], 4, v[2:3]
	v_add_co_u32_e32 v0, vcc, s2, v0
	v_addc_co_u32_e32 v1, vcc, v6, v1, vcc
	v_add_co_u32_e32 v16, vcc, v0, v2
	v_addc_co_u32_e32 v17, vcc, v1, v3, vcc
	v_mov_b32_e32 v0, s15
	v_add_co_u32_e32 v46, vcc, s14, v78
	s_mul_i32 s2, s9, 0x7d0
	s_mul_hi_u32 s3, s8, 0x7d0
	v_addc_co_u32_e32 v47, vcc, 0, v0, vcc
	s_add_i32 s2, s3, s2
	s_mul_i32 s3, s8, 0x7d0
	v_mov_b32_e32 v0, s2
	v_add_co_u32_e32 v18, vcc, s3, v16
	v_addc_co_u32_e32 v19, vcc, v17, v0, vcc
	global_load_dwordx4 v[0:3], v[16:17], off
	global_load_dwordx4 v[4:7], v[18:19], off
	global_load_dwordx4 v[8:11], v78, s[14:15]
	global_load_dwordx4 v[12:15], v78, s[14:15] offset:2000
	v_mov_b32_e32 v16, s2
	v_add_co_u32_e32 v28, vcc, s3, v18
	v_addc_co_u32_e32 v29, vcc, v19, v16, vcc
	v_mov_b32_e32 v20, s2
	v_add_co_u32_e32 v30, vcc, s3, v28
	v_addc_co_u32_e32 v31, vcc, v29, v20, vcc
	s_movk_i32 s8, 0x1000
	v_add_co_u32_e32 v40, vcc, s8, v46
	v_addc_co_u32_e32 v41, vcc, 0, v47, vcc
	global_load_dwordx4 v[16:19], v78, s[14:15] offset:4000
	global_load_dwordx4 v[20:23], v[28:29], off
	global_load_dwordx4 v[24:27], v[30:31], off
	v_mov_b32_e32 v28, s2
	v_add_co_u32_e32 v42, vcc, s3, v30
	v_addc_co_u32_e32 v43, vcc, v31, v28, vcc
	global_load_dwordx4 v[28:31], v[42:43], off
	global_load_dwordx4 v[32:35], v[40:41], off offset:1904
	global_load_dwordx4 v[36:39], v[40:41], off offset:3904
	v_mov_b32_e32 v40, s2
	v_add_co_u32_e32 v44, vcc, s3, v42
	v_addc_co_u32_e32 v45, vcc, v43, v40, vcc
	s_movk_i32 s8, 0x2000
	v_add_co_u32_e32 v56, vcc, s8, v46
	v_addc_co_u32_e32 v57, vcc, 0, v47, vcc
	global_load_dwordx4 v[40:43], v[44:45], off
	v_mov_b32_e32 v46, s2
	v_add_co_u32_e32 v58, vcc, s3, v44
	v_addc_co_u32_e32 v59, vcc, v45, v46, vcc
	global_load_dwordx4 v[44:47], v[56:57], off offset:1808
	global_load_dwordx4 v[48:51], v[56:57], off offset:3808
	global_load_dwordx4 v[52:55], v[58:59], off
	s_waitcnt vmcnt(11)
	v_mul_f64 v[56:57], v[2:3], v[10:11]
	v_mul_f64 v[10:11], v[0:1], v[10:11]
	s_waitcnt vmcnt(10)
	v_mul_f64 v[58:59], v[6:7], v[14:15]
	v_mul_f64 v[14:15], v[4:5], v[14:15]
	v_fma_f64 v[0:1], v[0:1], v[8:9], v[56:57]
	v_fma_f64 v[2:3], v[2:3], v[8:9], -v[10:11]
	v_fma_f64 v[4:5], v[4:5], v[12:13], v[58:59]
	v_fma_f64 v[6:7], v[6:7], v[12:13], -v[14:15]
	s_waitcnt vmcnt(8)
	v_mul_f64 v[60:61], v[22:23], v[18:19]
	v_mul_f64 v[18:19], v[20:21], v[18:19]
	s_waitcnt vmcnt(5)
	v_mul_f64 v[62:63], v[26:27], v[34:35]
	v_mul_f64 v[34:35], v[24:25], v[34:35]
	;; [unrolled: 3-line block ×3, first 2 shown]
	v_fma_f64 v[8:9], v[20:21], v[16:17], v[60:61]
	v_fma_f64 v[10:11], v[22:23], v[16:17], -v[18:19]
	v_fma_f64 v[12:13], v[24:25], v[32:33], v[62:63]
	v_fma_f64 v[14:15], v[26:27], v[32:33], -v[34:35]
	;; [unrolled: 2-line block ×3, first 2 shown]
	s_waitcnt vmcnt(2)
	v_mul_f64 v[66:67], v[42:43], v[46:47]
	v_mul_f64 v[46:47], v[40:41], v[46:47]
	s_waitcnt vmcnt(0)
	v_mul_f64 v[68:69], v[54:55], v[50:51]
	v_mul_f64 v[50:51], v[52:53], v[50:51]
	v_fma_f64 v[20:21], v[40:41], v[44:45], v[66:67]
	v_fma_f64 v[22:23], v[42:43], v[44:45], -v[46:47]
	v_fma_f64 v[24:25], v[52:53], v[48:49], v[68:69]
	v_fma_f64 v[26:27], v[54:55], v[48:49], -v[50:51]
	ds_write_b128 v78, v[0:3]
	ds_write_b128 v78, v[4:7] offset:2000
	ds_write_b128 v78, v[8:11] offset:4000
	;; [unrolled: 1-line block ×6, first 2 shown]
.LBB0_3:
	s_or_b64 exec, exec, s[6:7]
	s_load_dwordx2 s[6:7], s[4:5], 0x20
	s_load_dwordx2 s[2:3], s[4:5], 0x8
	s_waitcnt lgkmcnt(0)
	s_barrier
	s_waitcnt lgkmcnt(0)
                                        ; implicit-def: $vgpr0_vgpr1
                                        ; implicit-def: $vgpr4_vgpr5
                                        ; implicit-def: $vgpr8_vgpr9
                                        ; implicit-def: $vgpr12_vgpr13
                                        ; implicit-def: $vgpr16_vgpr17
                                        ; implicit-def: $vgpr20_vgpr21
                                        ; implicit-def: $vgpr24_vgpr25
	s_and_saveexec_b64 s[4:5], s[0:1]
	s_cbranch_execz .LBB0_5
; %bb.4:
	ds_read_b128 v[0:3], v78
	ds_read_b128 v[4:7], v78 offset:2000
	ds_read_b128 v[8:11], v78 offset:4000
	ds_read_b128 v[12:15], v78 offset:6000
	ds_read_b128 v[16:19], v78 offset:8000
	ds_read_b128 v[20:23], v78 offset:10000
	ds_read_b128 v[24:27], v78 offset:12000
.LBB0_5:
	s_or_b64 exec, exec, s[4:5]
	s_waitcnt lgkmcnt(0)
	v_add_f64 v[28:29], v[4:5], v[24:25]
	v_add_f64 v[30:31], v[6:7], v[26:27]
	;; [unrolled: 1-line block ×4, first 2 shown]
	v_add_f64 v[22:23], v[10:11], -v[22:23]
	v_add_f64 v[36:37], v[12:13], v[16:17]
	v_add_f64 v[38:39], v[14:15], v[18:19]
	v_add_f64 v[14:15], v[18:19], -v[14:15]
	v_add_f64 v[20:21], v[8:9], -v[20:21]
	v_add_f64 v[12:13], v[16:17], -v[12:13]
	v_add_f64 v[16:17], v[32:33], v[28:29]
	v_add_f64 v[18:19], v[34:35], v[30:31]
	v_add_f64 v[24:25], v[4:5], -v[24:25]
	v_add_f64 v[26:27], v[6:7], -v[26:27]
	;; [unrolled: 1-line block ×7, first 2 shown]
	v_add_f64 v[34:35], v[14:15], v[22:23]
	v_add_f64 v[8:9], v[36:37], -v[32:33]
	v_add_f64 v[40:41], v[12:13], -v[20:21]
	;; [unrolled: 1-line block ×3, first 2 shown]
	v_add_f64 v[36:37], v[36:37], v[16:17]
	v_add_f64 v[38:39], v[38:39], v[18:19]
	;; [unrolled: 1-line block ×3, first 2 shown]
	v_add_f64 v[20:21], v[20:21], -v[24:25]
	v_add_f64 v[22:23], v[22:23], -v[26:27]
	s_mov_b32 s4, 0x37e14327
	s_mov_b32 s5, 0x3fe948f6
	v_add_f64 v[46:47], v[26:27], -v[14:15]
	v_add_f64 v[14:15], v[34:35], v[26:27]
	v_mul_f64 v[26:27], v[28:29], s[4:5]
	v_mul_f64 v[30:31], v[30:31], s[4:5]
	s_mov_b32 s4, 0xe976ee23
	s_mov_b32 s5, 0xbfe11646
	v_add_f64 v[0:1], v[0:1], v[36:37]
	v_add_f64 v[2:3], v[2:3], v[38:39]
	v_mul_f64 v[18:19], v[40:41], s[4:5]
	v_mul_f64 v[16:17], v[42:43], s[4:5]
	s_mov_b32 s4, 0x429ad128
	v_add_f64 v[44:45], v[24:25], -v[12:13]
	s_mov_b32 s5, 0x3febfeb5
	v_mul_f64 v[28:29], v[20:21], s[4:5]
	v_mul_f64 v[20:21], v[22:23], s[4:5]
	s_mov_b32 s4, 0xaaaaaaaa
	s_mov_b32 s5, 0xbff2aaaa
	v_add_f64 v[12:13], v[32:33], v[24:25]
	s_mov_b32 s8, 0x36b3c0b5
	v_fma_f64 v[22:23], v[36:37], s[4:5], v[0:1]
	v_fma_f64 v[24:25], v[38:39], s[4:5], v[2:3]
	s_mov_b32 s5, 0x3fd5d0dc
	s_mov_b32 s4, 0xb247c609
	;; [unrolled: 1-line block ×5, first 2 shown]
	v_fma_f64 v[52:53], v[44:45], s[4:5], v[18:19]
	v_fma_f64 v[42:43], v[46:47], s[4:5], v[16:17]
	s_mov_b32 s5, 0xbfd5d0dc
	v_fma_f64 v[32:33], v[8:9], s[8:9], v[26:27]
	v_fma_f64 v[34:35], v[10:11], s[8:9], v[30:31]
	v_fma_f64 v[36:37], v[4:5], s[10:11], -v[26:27]
	v_fma_f64 v[38:39], v[6:7], s[10:11], -v[30:31]
	;; [unrolled: 1-line block ×4, first 2 shown]
	s_mov_b32 s16, 0x37c3f68c
	s_mov_b32 s17, 0x3fdc38aa
	v_add_f64 v[26:27], v[32:33], v[22:23]
	v_add_f64 v[30:31], v[34:35], v[24:25]
	v_add_f64 v[40:41], v[36:37], v[22:23]
	v_add_f64 v[44:45], v[38:39], v[24:25]
	v_fma_f64 v[48:49], v[14:15], s[16:17], v[46:47]
	v_fma_f64 v[50:51], v[12:13], s[16:17], v[50:51]
	;; [unrolled: 1-line block ×4, first 2 shown]
	v_mul_lo_u16_e32 v79, 7, v77
	s_barrier
	v_add_f64 v[32:33], v[40:41], -v[48:49]
	v_add_f64 v[34:35], v[50:51], v[44:45]
	v_add_f64 v[36:37], v[26:27], -v[42:43]
	v_add_f64 v[38:39], v[46:47], v[30:31]
	s_and_saveexec_b64 s[4:5], s[0:1]
	s_cbranch_execz .LBB0_7
; %bb.6:
	s_mov_b32 s11, 0x3fe77f67
	v_mul_f64 v[10:11], v[10:11], s[8:9]
	v_mul_f64 v[6:7], v[6:7], s[10:11]
	;; [unrolled: 1-line block ×6, first 2 shown]
	v_add_f64 v[18:19], v[28:29], -v[18:19]
	v_add_f64 v[6:7], v[6:7], -v[10:11]
	;; [unrolled: 1-line block ×4, first 2 shown]
	v_add_f64 v[8:9], v[26:27], v[42:43]
	v_add_f64 v[12:13], v[12:13], v[18:19]
	;; [unrolled: 1-line block ×5, first 2 shown]
	v_add_f64 v[10:11], v[30:31], -v[46:47]
	v_add_f64 v[6:7], v[44:45], -v[50:51]
	v_add_f64 v[4:5], v[40:41], v[48:49]
	v_add_f64 v[14:15], v[16:17], -v[12:13]
	v_add_f64 v[18:19], v[12:13], v[16:17]
	;; [unrolled: 2-line block ×3, first 2 shown]
	v_lshlrev_b32_e32 v20, 4, v79
	ds_write_b128 v20, v[0:3]
	ds_write_b128 v20, v[32:35] offset:80
	ds_write_b128 v20, v[8:11] offset:16
	;; [unrolled: 1-line block ×6, first 2 shown]
.LBB0_7:
	s_or_b64 exec, exec, s[4:5]
	v_mov_b32_e32 v0, 37
	v_mul_lo_u16_sdwa v0, v77, v0 dst_sel:DWORD dst_unused:UNUSED_PAD src0_sel:BYTE_0 src1_sel:DWORD
	v_sub_u16_sdwa v1, v77, v0 dst_sel:DWORD dst_unused:UNUSED_PAD src0_sel:DWORD src1_sel:BYTE_1
	v_lshrrev_b16_e32 v1, 1, v1
	v_and_b32_e32 v1, 0x7f, v1
	v_add_u16_sdwa v0, v1, v0 dst_sel:DWORD dst_unused:UNUSED_PAD src0_sel:DWORD src1_sel:BYTE_1
	v_lshrrev_b16_e32 v60, 2, v0
	v_mul_lo_u16_e32 v0, 7, v60
	v_sub_u16_e32 v0, v77, v0
	v_and_b32_e32 v61, 0xff, v0
	v_lshlrev_b32_e32 v16, 6, v61
	s_load_dwordx4 s[4:7], s[6:7], 0x0
	s_waitcnt lgkmcnt(0)
	s_barrier
	global_load_dwordx4 v[12:15], v16, s[2:3]
	global_load_dwordx4 v[8:11], v16, s[2:3] offset:16
	global_load_dwordx4 v[4:7], v16, s[2:3] offset:32
	;; [unrolled: 1-line block ×3, first 2 shown]
	ds_read_b128 v[16:19], v78
	ds_read_b128 v[20:23], v78 offset:2800
	ds_read_b128 v[24:27], v78 offset:5600
	;; [unrolled: 1-line block ×4, first 2 shown]
	s_movk_i32 s22, 0xeb
	v_mul_lo_u16_sdwa v44, v77, s22 dst_sel:DWORD dst_unused:UNUSED_PAD src0_sel:BYTE_0 src1_sel:DWORD
	v_lshrrev_b16_e32 v81, 13, v44
	v_mul_lo_u16_e32 v44, 35, v81
	v_sub_u16_e32 v44, v77, v44
	v_and_b32_e32 v82, 0xff, v44
	s_mov_b32 s16, 0x134454ff
	s_mov_b32 s17, 0x3fee6f0e
	;; [unrolled: 1-line block ×10, first 2 shown]
	v_lshlrev_b32_e32 v83, 6, v82
	s_waitcnt vmcnt(0) lgkmcnt(0)
	s_barrier
	v_lshlrev_b32_e32 v100, 6, v77
	v_mul_f64 v[44:45], v[22:23], v[14:15]
	v_mul_f64 v[46:47], v[20:21], v[14:15]
	;; [unrolled: 1-line block ×8, first 2 shown]
	v_fma_f64 v[20:21], v[20:21], v[12:13], -v[44:45]
	v_fma_f64 v[22:23], v[22:23], v[12:13], v[46:47]
	v_fma_f64 v[24:25], v[24:25], v[8:9], -v[48:49]
	v_fma_f64 v[26:27], v[26:27], v[8:9], v[50:51]
	;; [unrolled: 2-line block ×4, first 2 shown]
	v_mul_u32_u24_e32 v44, 35, v60
	v_add_lshl_u32 v80, v44, v61, 4
	v_add_f64 v[44:45], v[16:17], v[20:21]
	v_add_f64 v[52:53], v[20:21], -v[24:25]
	v_add_f64 v[46:47], v[24:25], v[28:29]
	v_add_f64 v[62:63], v[18:19], v[22:23]
	v_add_f64 v[54:55], v[40:41], -v[28:29]
	v_add_f64 v[64:65], v[26:27], v[30:31]
	v_add_f64 v[56:57], v[20:21], v[40:41]
	;; [unrolled: 1-line block ×3, first 2 shown]
	v_add_f64 v[48:49], v[22:23], -v[42:43]
	v_add_f64 v[50:51], v[26:27], -v[30:31]
	;; [unrolled: 1-line block ×9, first 2 shown]
	v_add_f64 v[24:25], v[44:45], v[24:25]
	v_fma_f64 v[44:45], v[46:47], -0.5, v[16:17]
	v_add_f64 v[46:47], v[52:53], v[54:55]
	v_add_f64 v[26:27], v[62:63], v[26:27]
	v_fma_f64 v[54:55], v[64:65], -0.5, v[18:19]
	v_fma_f64 v[16:17], v[56:57], -0.5, v[16:17]
	;; [unrolled: 1-line block ×3, first 2 shown]
	v_add_f64 v[70:71], v[42:43], -v[30:31]
	v_add_f64 v[52:53], v[58:59], v[60:61]
	v_add_f64 v[58:59], v[22:23], v[74:75]
	;; [unrolled: 1-line block ×3, first 2 shown]
	v_fma_f64 v[24:25], v[48:49], s[16:17], v[44:45]
	v_add_f64 v[26:27], v[26:27], v[30:31]
	v_fma_f64 v[30:31], v[20:21], s[20:21], v[54:55]
	v_fma_f64 v[28:29], v[48:49], s[20:21], v[44:45]
	;; [unrolled: 1-line block ×7, first 2 shown]
	v_add_f64 v[56:57], v[68:69], v[70:71]
	v_add_f64 v[16:17], v[22:23], v[40:41]
	v_fma_f64 v[22:23], v[50:51], s[8:9], v[24:25]
	v_add_f64 v[18:19], v[26:27], v[42:43]
	v_fma_f64 v[26:27], v[66:67], s[18:19], v[30:31]
	v_fma_f64 v[24:25], v[50:51], s[18:19], v[28:29]
	;; [unrolled: 1-line block ×15, first 2 shown]
	ds_write_b128 v80, v[16:19]
	ds_write_b128 v80, v[20:23] offset:112
	ds_write_b128 v80, v[28:31] offset:224
	;; [unrolled: 1-line block ×4, first 2 shown]
	s_waitcnt lgkmcnt(0)
	s_barrier
	global_load_dwordx4 v[28:31], v83, s[2:3] offset:448
	global_load_dwordx4 v[24:27], v83, s[2:3] offset:464
	;; [unrolled: 1-line block ×4, first 2 shown]
	ds_read_b128 v[40:43], v78 offset:2800
	ds_read_b128 v[44:47], v78 offset:5600
	;; [unrolled: 1-line block ×4, first 2 shown]
	ds_read_b128 v[56:59], v78
	s_waitcnt vmcnt(0) lgkmcnt(0)
	s_barrier
	v_mul_f64 v[60:61], v[42:43], v[30:31]
	v_mul_f64 v[62:63], v[46:47], v[26:27]
	;; [unrolled: 1-line block ×8, first 2 shown]
	v_fma_f64 v[40:41], v[40:41], v[28:29], -v[60:61]
	v_fma_f64 v[44:45], v[44:45], v[24:25], -v[62:63]
	v_fma_f64 v[48:49], v[48:49], v[20:21], -v[64:65]
	v_fma_f64 v[52:53], v[52:53], v[16:17], -v[66:67]
	v_fma_f64 v[42:43], v[42:43], v[28:29], v[68:69]
	v_fma_f64 v[46:47], v[46:47], v[24:25], v[70:71]
	;; [unrolled: 1-line block ×4, first 2 shown]
	v_mul_u32_u24_e32 v60, 0xaf, v81
	v_add_lshl_u32 v81, v60, v82, 4
	v_add_f64 v[60:61], v[44:45], v[48:49]
	v_add_f64 v[62:63], v[40:41], v[52:53]
	;; [unrolled: 1-line block ×6, first 2 shown]
	v_add_f64 v[70:71], v[40:41], -v[44:45]
	v_add_f64 v[72:73], v[52:53], -v[48:49]
	;; [unrolled: 1-line block ×9, first 2 shown]
	v_fma_f64 v[40:41], v[60:61], -0.5, v[56:57]
	v_fma_f64 v[56:57], v[62:63], -0.5, v[56:57]
	v_add_f64 v[44:45], v[68:69], v[44:45]
	v_fma_f64 v[60:61], v[64:65], -0.5, v[58:59]
	v_add_f64 v[46:47], v[82:83], v[46:47]
	v_fma_f64 v[58:59], v[66:67], -0.5, v[58:59]
	v_add_f64 v[84:85], v[48:49], -v[52:53]
	v_add_f64 v[88:89], v[54:55], -v[50:51]
	;; [unrolled: 1-line block ×3, first 2 shown]
	v_add_f64 v[62:63], v[70:71], v[72:73]
	v_add_f64 v[44:45], v[44:45], v[48:49]
	v_fma_f64 v[48:49], v[42:43], s[16:17], v[40:41]
	v_add_f64 v[46:47], v[46:47], v[50:51]
	v_fma_f64 v[50:51], v[94:95], s[20:21], v[56:57]
	v_fma_f64 v[56:57], v[94:95], s[16:17], v[56:57]
	v_fma_f64 v[70:71], v[96:97], s[20:21], v[60:61]
	v_fma_f64 v[72:73], v[98:99], s[16:17], v[58:59]
	v_fma_f64 v[58:59], v[98:99], s[20:21], v[58:59]
	v_fma_f64 v[40:41], v[42:43], s[20:21], v[40:41]
	v_fma_f64 v[60:61], v[96:97], s[16:17], v[60:61]
	v_add_f64 v[66:67], v[86:87], v[88:89]
	v_fma_f64 v[48:49], v[94:95], s[8:9], v[48:49]
	v_fma_f64 v[50:51], v[42:43], s[8:9], v[50:51]
	;; [unrolled: 1-line block ×3, first 2 shown]
	v_add_f64 v[42:43], v[46:47], v[54:55]
	v_fma_f64 v[46:47], v[98:99], s[18:19], v[70:71]
	v_add_f64 v[64:65], v[74:75], v[84:85]
	v_add_f64 v[68:69], v[90:91], v[92:93]
	v_fma_f64 v[54:55], v[96:97], s[18:19], v[72:73]
	v_fma_f64 v[58:59], v[96:97], s[8:9], v[58:59]
	;; [unrolled: 1-line block ×4, first 2 shown]
	v_add_f64 v[40:41], v[44:45], v[52:53]
	v_fma_f64 v[44:45], v[62:63], s[10:11], v[48:49]
	v_fma_f64 v[46:47], v[66:67], s[10:11], v[46:47]
	;; [unrolled: 1-line block ×8, first 2 shown]
	ds_write_b128 v81, v[40:43]
	ds_write_b128 v81, v[44:47] offset:560
	ds_write_b128 v81, v[52:55] offset:1120
	;; [unrolled: 1-line block ×4, first 2 shown]
	s_waitcnt lgkmcnt(0)
	s_barrier
	global_load_dwordx4 v[52:55], v100, s[2:3] offset:2688
	global_load_dwordx4 v[48:51], v100, s[2:3] offset:2704
	;; [unrolled: 1-line block ×4, first 2 shown]
	ds_read_b128 v[56:59], v78 offset:2800
	ds_read_b128 v[60:63], v78 offset:5600
	;; [unrolled: 1-line block ×4, first 2 shown]
	ds_read_b128 v[72:75], v78
	s_waitcnt vmcnt(3) lgkmcnt(4)
	v_mul_f64 v[82:83], v[58:59], v[54:55]
	v_mul_f64 v[84:85], v[56:57], v[54:55]
	s_waitcnt vmcnt(2) lgkmcnt(3)
	v_mul_f64 v[86:87], v[62:63], v[50:51]
	v_mul_f64 v[88:89], v[60:61], v[50:51]
	s_waitcnt vmcnt(1) lgkmcnt(2)
	v_mul_f64 v[90:91], v[66:67], v[46:47]
	s_waitcnt vmcnt(0) lgkmcnt(1)
	v_mul_f64 v[92:93], v[70:71], v[42:43]
	v_mul_f64 v[94:95], v[64:65], v[46:47]
	v_mul_f64 v[96:97], v[68:69], v[42:43]
	v_fma_f64 v[56:57], v[56:57], v[52:53], -v[82:83]
	v_fma_f64 v[58:59], v[58:59], v[52:53], v[84:85]
	v_fma_f64 v[60:61], v[60:61], v[48:49], -v[86:87]
	v_fma_f64 v[62:63], v[62:63], v[48:49], v[88:89]
	v_fma_f64 v[64:65], v[64:65], v[44:45], -v[90:91]
	v_fma_f64 v[68:69], v[68:69], v[40:41], -v[92:93]
	v_fma_f64 v[66:67], v[66:67], v[44:45], v[94:95]
	v_fma_f64 v[70:71], v[70:71], v[40:41], v[96:97]
	s_waitcnt lgkmcnt(0)
	v_add_f64 v[108:109], v[72:73], v[56:57]
	v_add_f64 v[106:107], v[74:75], v[58:59]
	v_add_f64 v[82:83], v[60:61], -v[56:57]
	v_add_f64 v[86:87], v[62:63], -v[58:59]
	v_add_f64 v[102:103], v[60:61], v[64:65]
	v_add_f64 v[84:85], v[64:65], -v[68:69]
	v_add_f64 v[90:91], v[56:57], v[68:69]
	;; [unrolled: 2-line block ×3, first 2 shown]
	v_add_f64 v[104:105], v[62:63], v[66:67]
	v_add_f64 v[94:95], v[62:63], -v[66:67]
	v_add_f64 v[96:97], v[58:59], -v[70:71]
	;; [unrolled: 1-line block ×8, first 2 shown]
	v_add_f64 v[82:83], v[82:83], v[84:85]
	v_add_f64 v[84:85], v[86:87], v[88:89]
	v_fma_f64 v[86:87], v[90:91], -0.5, v[72:73]
	v_fma_f64 v[88:89], v[92:93], -0.5, v[74:75]
	;; [unrolled: 1-line block ×4, first 2 shown]
	v_add_f64 v[60:61], v[108:109], v[60:61]
	v_add_f64 v[62:63], v[106:107], v[62:63]
	;; [unrolled: 1-line block ×4, first 2 shown]
	v_fma_f64 v[56:57], v[94:95], s[20:21], v[86:87]
	v_fma_f64 v[58:59], v[98:99], s[16:17], v[88:89]
	;; [unrolled: 1-line block ×4, first 2 shown]
	v_add_f64 v[60:61], v[60:61], v[64:65]
	v_add_f64 v[62:63], v[62:63], v[66:67]
	v_fma_f64 v[64:65], v[96:97], s[16:17], v[72:73]
	v_fma_f64 v[66:67], v[96:97], s[20:21], v[72:73]
	;; [unrolled: 1-line block ×8, first 2 shown]
	v_add_f64 v[56:57], v[60:61], v[68:69]
	v_fma_f64 v[60:61], v[94:95], s[8:9], v[64:65]
	v_fma_f64 v[72:73], v[98:99], s[18:19], v[72:73]
	;; [unrolled: 1-line block ×4, first 2 shown]
	v_add_f64 v[58:59], v[62:63], v[70:71]
	v_fma_f64 v[64:65], v[82:83], s[10:11], v[102:103]
	v_fma_f64 v[66:67], v[84:85], s[10:11], v[104:105]
	v_fma_f64 v[68:69], v[82:83], s[10:11], v[86:87]
	v_fma_f64 v[60:61], v[90:91], s[10:11], v[60:61]
	v_fma_f64 v[62:63], v[92:93], s[10:11], v[72:73]
	v_fma_f64 v[70:71], v[84:85], s[10:11], v[88:89]
	v_fma_f64 v[72:73], v[90:91], s[10:11], v[94:95]
	v_fma_f64 v[74:75], v[92:93], s[10:11], v[74:75]
	ds_write_b128 v78, v[56:59]
	ds_write_b128 v78, v[60:63] offset:2800
	ds_write_b128 v78, v[64:67] offset:5600
	ds_write_b128 v78, v[68:71] offset:8400
	ds_write_b128 v78, v[72:75] offset:11200
	s_waitcnt lgkmcnt(0)
	s_barrier
	s_and_saveexec_b64 s[2:3], s[0:1]
	s_cbranch_execz .LBB0_9
; %bb.8:
	v_add_co_u32_e32 v96, vcc, s14, v78
	v_mov_b32_e32 v82, s15
	v_addc_co_u32_e32 v97, vcc, 0, v82, vcc
	v_add_co_u32_e32 v94, vcc, 0x36b0, v96
	v_addc_co_u32_e32 v95, vcc, 0, v97, vcc
	v_add_co_u32_e32 v86, vcc, 0x3000, v96
	v_addc_co_u32_e32 v87, vcc, 0, v97, vcc
	global_load_dwordx4 v[86:89], v[86:87], off offset:1712
	ds_read_b128 v[82:85], v78
	s_movk_i32 s8, 0x4000
	s_waitcnt vmcnt(0) lgkmcnt(0)
	v_mul_f64 v[90:91], v[84:85], v[88:89]
	v_fma_f64 v[90:91], v[82:83], v[86:87], -v[90:91]
	v_mul_f64 v[82:83], v[82:83], v[88:89]
	v_fma_f64 v[92:93], v[84:85], v[86:87], v[82:83]
	global_load_dwordx4 v[86:89], v[94:95], off offset:2000
	ds_read_b128 v[82:85], v78 offset:2000
	ds_write_b128 v78, v[90:93]
	s_waitcnt vmcnt(0) lgkmcnt(1)
	v_mul_f64 v[90:91], v[84:85], v[88:89]
	v_fma_f64 v[90:91], v[82:83], v[86:87], -v[90:91]
	v_mul_f64 v[82:83], v[82:83], v[88:89]
	v_fma_f64 v[92:93], v[84:85], v[86:87], v[82:83]
	global_load_dwordx4 v[86:89], v[94:95], off offset:4000
	ds_read_b128 v[82:85], v78 offset:4000
	ds_write_b128 v78, v[90:93] offset:2000
	s_waitcnt vmcnt(0) lgkmcnt(1)
	v_mul_f64 v[90:91], v[84:85], v[88:89]
	v_fma_f64 v[90:91], v[82:83], v[86:87], -v[90:91]
	v_mul_f64 v[82:83], v[82:83], v[88:89]
	v_fma_f64 v[92:93], v[84:85], v[86:87], v[82:83]
	v_add_co_u32_e32 v86, vcc, s8, v96
	v_addc_co_u32_e32 v87, vcc, 0, v97, vcc
	global_load_dwordx4 v[86:89], v[86:87], off offset:3616
	ds_read_b128 v[82:85], v78 offset:6000
	s_movk_i32 s8, 0x5000
	ds_write_b128 v78, v[90:93] offset:4000
	v_add_co_u32_e32 v94, vcc, s8, v96
	v_addc_co_u32_e32 v95, vcc, 0, v97, vcc
	s_movk_i32 s8, 0x6000
	s_waitcnt vmcnt(0) lgkmcnt(1)
	v_mul_f64 v[90:91], v[84:85], v[88:89]
	v_fma_f64 v[90:91], v[82:83], v[86:87], -v[90:91]
	v_mul_f64 v[82:83], v[82:83], v[88:89]
	v_fma_f64 v[92:93], v[84:85], v[86:87], v[82:83]
	global_load_dwordx4 v[86:89], v[94:95], off offset:1520
	ds_read_b128 v[82:85], v78 offset:8000
	ds_write_b128 v78, v[90:93] offset:6000
	s_waitcnt vmcnt(0) lgkmcnt(1)
	v_mul_f64 v[90:91], v[84:85], v[88:89]
	v_fma_f64 v[90:91], v[82:83], v[86:87], -v[90:91]
	v_mul_f64 v[82:83], v[82:83], v[88:89]
	v_fma_f64 v[92:93], v[84:85], v[86:87], v[82:83]
	global_load_dwordx4 v[86:89], v[94:95], off offset:3520
	ds_read_b128 v[82:85], v78 offset:10000
	ds_write_b128 v78, v[90:93] offset:8000
	s_waitcnt vmcnt(0) lgkmcnt(1)
	v_mul_f64 v[90:91], v[84:85], v[88:89]
	v_fma_f64 v[90:91], v[82:83], v[86:87], -v[90:91]
	v_mul_f64 v[82:83], v[82:83], v[88:89]
	v_fma_f64 v[92:93], v[84:85], v[86:87], v[82:83]
	v_add_co_u32_e32 v86, vcc, s8, v96
	v_addc_co_u32_e32 v87, vcc, 0, v97, vcc
	global_load_dwordx4 v[86:89], v[86:87], off offset:1424
	ds_read_b128 v[82:85], v78 offset:12000
	ds_write_b128 v78, v[90:93] offset:10000
	s_waitcnt vmcnt(0) lgkmcnt(1)
	v_mul_f64 v[90:91], v[84:85], v[88:89]
	v_fma_f64 v[90:91], v[82:83], v[86:87], -v[90:91]
	v_mul_f64 v[82:83], v[82:83], v[88:89]
	v_fma_f64 v[92:93], v[84:85], v[86:87], v[82:83]
	ds_write_b128 v78, v[90:93] offset:12000
.LBB0_9:
	s_or_b64 exec, exec, s[2:3]
	s_waitcnt lgkmcnt(0)
	s_barrier
	s_and_saveexec_b64 s[2:3], s[0:1]
	s_cbranch_execz .LBB0_11
; %bb.10:
	ds_read_b128 v[56:59], v78
	ds_read_b128 v[60:63], v78 offset:2000
	ds_read_b128 v[64:67], v78 offset:4000
	;; [unrolled: 1-line block ×6, first 2 shown]
.LBB0_11:
	s_or_b64 exec, exec, s[2:3]
	s_waitcnt lgkmcnt(0)
	s_barrier
	s_and_saveexec_b64 s[2:3], s[0:1]
	s_cbranch_execz .LBB0_13
; %bb.12:
	v_add_f64 v[82:83], v[62:63], v[38:39]
	v_add_f64 v[84:85], v[66:67], v[34:35]
	;; [unrolled: 1-line block ×3, first 2 shown]
	v_add_f64 v[86:87], v[60:61], -v[36:37]
	v_add_f64 v[88:89], v[72:73], -v[68:69]
	;; [unrolled: 1-line block ×3, first 2 shown]
	v_add_f64 v[60:61], v[60:61], v[36:37]
	v_add_f64 v[32:33], v[64:65], v[32:33]
	v_add_f64 v[70:71], v[74:75], -v[70:71]
	v_add_f64 v[94:95], v[84:85], v[82:83]
	v_add_f64 v[64:65], v[82:83], -v[92:93]
	v_add_f64 v[66:67], v[66:67], -v[34:35]
	s_mov_b32 s18, 0x37e14327
	s_mov_b32 s19, 0x3fe948f6
	v_add_f64 v[96:97], v[88:89], -v[90:91]
	v_add_f64 v[68:69], v[68:69], v[72:73]
	v_add_f64 v[72:73], v[86:87], -v[88:89]
	v_add_f64 v[94:95], v[92:93], v[94:95]
	v_add_f64 v[88:89], v[88:89], v[90:91]
	v_mul_f64 v[64:65], v[64:65], s[18:19]
	v_add_f64 v[38:39], v[62:63], -v[38:39]
	v_add_f64 v[62:63], v[70:71], -v[66:67]
	s_mov_b32 s16, 0xaaaaaaaa
	s_mov_b32 s20, 0x36b3c0b5
	;; [unrolled: 1-line block ×3, first 2 shown]
	v_add_f64 v[36:37], v[58:59], v[94:95]
	v_add_f64 v[58:59], v[92:93], -v[84:85]
	v_add_f64 v[92:93], v[32:33], v[60:61]
	s_mov_b32 s21, 0x3fac98ee
	v_add_f64 v[88:89], v[88:89], v[86:87]
	v_add_f64 v[86:87], v[90:91], -v[86:87]
	s_mov_b32 s10, 0xe976ee23
	s_mov_b32 s11, 0x3fe11646
	v_fma_f64 v[94:95], v[94:95], s[16:17], v[36:37]
	v_fma_f64 v[34:35], v[58:59], s[20:21], v[64:65]
	v_add_f64 v[74:75], v[68:69], v[92:93]
	v_mul_f64 v[96:97], v[96:97], s[10:11]
	v_mul_f64 v[62:63], v[62:63], s[10:11]
	s_mov_b32 s10, 0x429ad128
	v_add_f64 v[92:93], v[60:61], -v[68:69]
	v_add_f64 v[90:91], v[38:39], -v[70:71]
	s_mov_b32 s11, 0xbfebfeb5
	v_mul_f64 v[104:105], v[86:87], s[10:11]
	v_add_f64 v[82:83], v[84:85], -v[82:83]
	v_add_f64 v[84:85], v[66:67], -v[38:39]
	v_add_f64 v[100:101], v[34:35], v[94:95]
	v_add_f64 v[34:35], v[56:57], v[74:75]
	v_add_f64 v[56:57], v[68:69], -v[32:33]
	s_mov_b32 s9, 0xbfd5d0dc
	s_mov_b32 s8, 0xb247c609
	v_fma_f64 v[98:99], v[72:73], s[8:9], v[96:97]
	v_mul_f64 v[92:93], v[92:93], s[18:19]
	v_fma_f64 v[106:107], v[90:91], s[8:9], v[62:63]
	v_add_f64 v[32:33], v[32:33], -v[60:61]
	v_add_f64 v[60:61], v[70:71], v[66:67]
	s_mov_b32 s9, 0x3fd5d0dc
	v_mul_f64 v[68:69], v[58:59], s[20:21]
	v_fma_f64 v[66:67], v[72:73], s[8:9], -v[104:105]
	v_mul_f64 v[70:71], v[84:85], s[10:11]
	v_mul_f64 v[102:103], v[56:57], s[20:21]
	s_mov_b32 s22, 0x37c3f68c
	v_fma_f64 v[74:75], v[74:75], s[16:17], v[34:35]
	s_mov_b32 s17, 0xbfe77f67
	s_mov_b32 s16, 0x5476071b
	;; [unrolled: 1-line block ×3, first 2 shown]
	v_fma_f64 v[56:57], v[56:57], s[20:21], v[92:93]
	v_fma_f64 v[64:65], v[82:83], s[16:17], -v[64:65]
	v_fma_f64 v[72:73], v[32:33], s[16:17], -v[92:93]
	s_mov_b32 s17, 0x3fe77f67
	v_add_f64 v[38:39], v[60:61], v[38:39]
	v_fma_f64 v[68:69], v[82:83], s[16:17], -v[68:69]
	v_fma_f64 v[82:83], v[86:87], s[10:11], -v[96:97]
	v_fma_f64 v[60:61], v[88:89], s[22:23], v[66:67]
	v_fma_f64 v[66:67], v[90:91], s[8:9], -v[70:71]
	v_fma_f64 v[32:33], v[32:33], s[16:17], -v[102:103]
	;; [unrolled: 1-line block ×3, first 2 shown]
	v_fma_f64 v[98:99], v[88:89], s[22:23], v[98:99]
	v_add_f64 v[56:57], v[56:57], v[74:75]
	v_fma_f64 v[86:87], v[38:39], s[22:23], v[106:107]
	v_add_f64 v[64:65], v[64:65], v[94:95]
	;; [unrolled: 2-line block ×4, first 2 shown]
	v_add_f64 v[32:33], v[32:33], v[74:75]
	v_fma_f64 v[38:39], v[38:39], s[22:23], v[62:63]
	v_add_f64 v[84:85], v[100:101], -v[98:99]
	v_add_f64 v[82:83], v[56:57], v[86:87]
	v_add_f64 v[74:75], v[64:65], -v[60:61]
	v_add_f64 v[62:63], v[60:61], v[64:65]
	v_add_f64 v[72:73], v[88:89], v[90:91]
	v_add_f64 v[66:67], v[68:69], -v[70:71]
	v_add_f64 v[70:71], v[70:71], v[68:69]
	v_add_f64 v[68:69], v[32:33], -v[38:39]
	;; [unrolled: 2-line block ×4, first 2 shown]
	v_lshlrev_b32_e32 v32, 4, v79
	ds_write_b128 v32, v[34:37]
	ds_write_b128 v32, v[82:85] offset:16
	ds_write_b128 v32, v[72:75] offset:32
	;; [unrolled: 1-line block ×6, first 2 shown]
.LBB0_13:
	s_or_b64 exec, exec, s[2:3]
	s_waitcnt lgkmcnt(0)
	s_barrier
	ds_read_b128 v[32:35], v78 offset:5600
	ds_read_b128 v[36:39], v78 offset:8400
	;; [unrolled: 1-line block ×4, first 2 shown]
	s_mov_b32 s2, 0x134454ff
	s_waitcnt lgkmcnt(3)
	v_mul_f64 v[64:65], v[10:11], v[34:35]
	s_waitcnt lgkmcnt(2)
	v_mul_f64 v[66:67], v[6:7], v[38:39]
	;; [unrolled: 2-line block ×3, first 2 shown]
	v_mul_f64 v[14:15], v[14:15], v[56:57]
	v_mul_f64 v[10:11], v[10:11], v[32:33]
	;; [unrolled: 1-line block ×3, first 2 shown]
	s_mov_b32 s3, 0xbfee6f0e
	s_mov_b32 s8, 0x4755a5e
	v_fma_f64 v[72:73], v[8:9], v[32:33], v[64:65]
	v_fma_f64 v[74:75], v[4:5], v[36:37], v[66:67]
	ds_read_b128 v[64:67], v78
	s_waitcnt lgkmcnt(1)
	v_mul_f64 v[70:71], v[2:3], v[60:61]
	v_mul_f64 v[2:3], v[2:3], v[62:63]
	v_fma_f64 v[32:33], v[12:13], v[56:57], v[68:69]
	v_fma_f64 v[12:13], v[12:13], v[58:59], -v[14:15]
	v_fma_f64 v[8:9], v[8:9], v[34:35], -v[10:11]
	;; [unrolled: 1-line block ×3, first 2 shown]
	v_add_f64 v[36:37], v[72:73], v[74:75]
	s_mov_b32 s9, 0xbfe2cf23
	v_fma_f64 v[14:15], v[0:1], v[62:63], -v[70:71]
	v_fma_f64 v[2:3], v[0:1], v[60:61], v[2:3]
	s_waitcnt lgkmcnt(0)
	v_add_f64 v[0:1], v[64:65], v[32:33]
	s_mov_b32 s19, 0x3fee6f0e
	s_mov_b32 s18, s2
	v_add_f64 v[34:35], v[8:9], -v[6:7]
	v_fma_f64 v[4:5], v[36:37], -0.5, v[64:65]
	v_add_f64 v[36:37], v[32:33], -v[72:73]
	v_add_f64 v[10:11], v[12:13], -v[14:15]
	;; [unrolled: 1-line block ×3, first 2 shown]
	v_add_f64 v[56:57], v[32:33], v[2:3]
	v_add_f64 v[0:1], v[0:1], v[72:73]
	;; [unrolled: 1-line block ×3, first 2 shown]
	s_mov_b32 s10, 0x372fe950
	s_mov_b32 s11, 0x3fd3c6ef
	v_add_f64 v[70:71], v[66:67], v[12:13]
	v_fma_f64 v[58:59], v[10:11], s[2:3], v[4:5]
	v_add_f64 v[36:37], v[36:37], v[38:39]
	v_fma_f64 v[38:39], v[56:57], -0.5, v[64:65]
	v_add_f64 v[0:1], v[0:1], v[74:75]
	v_fma_f64 v[62:63], v[10:11], s[18:19], v[4:5]
	s_mov_b32 s17, 0x3fe2cf23
	s_mov_b32 s16, s8
	v_add_f64 v[68:69], v[74:75], -v[2:3]
	v_fma_f64 v[56:57], v[34:35], s[8:9], v[58:59]
	v_add_f64 v[58:59], v[8:9], v[6:7]
	v_fma_f64 v[60:61], v[60:61], -0.5, v[66:67]
	v_add_f64 v[0:1], v[0:1], v[2:3]
	v_add_f64 v[2:3], v[32:33], -v[2:3]
	v_fma_f64 v[64:65], v[34:35], s[18:19], v[38:39]
	s_barrier
	v_fma_f64 v[4:5], v[36:37], s[10:11], v[56:57]
	v_add_f64 v[56:57], v[72:73], -v[32:33]
	v_fma_f64 v[58:59], v[58:59], -0.5, v[66:67]
	v_fma_f64 v[32:33], v[34:35], s[16:17], v[62:63]
	v_add_f64 v[62:63], v[72:73], -v[74:75]
	v_fma_f64 v[34:35], v[34:35], s[2:3], v[38:39]
	v_add_f64 v[38:39], v[70:71], v[8:9]
	v_add_f64 v[70:71], v[14:15], -v[6:7]
	v_fma_f64 v[64:65], v[10:11], s[8:9], v[64:65]
	v_add_f64 v[56:57], v[56:57], v[68:69]
	v_fma_f64 v[66:67], v[2:3], s[18:19], v[58:59]
	v_add_f64 v[68:69], v[12:13], -v[8:9]
	v_fma_f64 v[72:73], v[62:63], s[2:3], v[60:61]
	v_add_f64 v[8:9], v[8:9], -v[12:13]
	v_add_f64 v[12:13], v[6:7], -v[14:15]
	v_fma_f64 v[60:61], v[62:63], s[18:19], v[60:61]
	v_fma_f64 v[58:59], v[2:3], s[2:3], v[58:59]
	v_add_f64 v[6:7], v[38:39], v[6:7]
	v_fma_f64 v[10:11], v[10:11], s[16:17], v[34:35]
	v_fma_f64 v[34:35], v[62:63], s[16:17], v[66:67]
	v_add_f64 v[38:39], v[68:69], v[70:71]
	v_fma_f64 v[66:67], v[2:3], s[16:17], v[72:73]
	v_add_f64 v[68:69], v[8:9], v[12:13]
	v_fma_f64 v[60:61], v[2:3], s[8:9], v[60:61]
	v_fma_f64 v[58:59], v[62:63], s[8:9], v[58:59]
	v_add_f64 v[2:3], v[6:7], v[14:15]
	v_fma_f64 v[12:13], v[56:57], s[10:11], v[64:65]
	v_fma_f64 v[8:9], v[36:37], s[10:11], v[32:33]
	;; [unrolled: 1-line block ×7, first 2 shown]
	ds_write_b128 v80, v[0:3]
	ds_write_b128 v80, v[4:7] offset:112
	ds_write_b128 v80, v[12:15] offset:224
	;; [unrolled: 1-line block ×4, first 2 shown]
	s_waitcnt lgkmcnt(0)
	s_barrier
	ds_read_b128 v[0:3], v78 offset:5600
	ds_read_b128 v[4:7], v78 offset:8400
	;; [unrolled: 1-line block ×4, first 2 shown]
	s_waitcnt lgkmcnt(3)
	v_mul_f64 v[32:33], v[26:27], v[2:3]
	s_waitcnt lgkmcnt(2)
	v_mul_f64 v[34:35], v[22:23], v[6:7]
	;; [unrolled: 2-line block ×3, first 2 shown]
	v_mul_f64 v[38:39], v[30:31], v[8:9]
	v_fma_f64 v[56:57], v[24:25], v[0:1], v[32:33]
	ds_read_b128 v[30:33], v78
	s_waitcnt lgkmcnt(1)
	v_mul_f64 v[58:59], v[18:19], v[12:13]
	v_fma_f64 v[8:9], v[28:29], v[8:9], v[36:37]
	v_fma_f64 v[10:11], v[28:29], v[10:11], -v[38:39]
	v_fma_f64 v[34:35], v[20:21], v[4:5], v[34:35]
	v_mul_f64 v[0:1], v[26:27], v[0:1]
	v_mul_f64 v[4:5], v[22:23], v[4:5]
	s_waitcnt lgkmcnt(0)
	s_barrier
	v_fma_f64 v[28:29], v[16:17], v[14:15], -v[58:59]
	v_mul_f64 v[14:15], v[18:19], v[14:15]
	v_add_f64 v[58:59], v[32:33], v[10:11]
	v_add_f64 v[26:27], v[56:57], v[34:35]
	v_fma_f64 v[2:3], v[24:25], v[2:3], -v[0:1]
	v_add_f64 v[0:1], v[30:31], v[8:9]
	v_fma_f64 v[6:7], v[20:21], v[6:7], -v[4:5]
	v_add_f64 v[36:37], v[56:57], -v[8:9]
	v_add_f64 v[22:23], v[10:11], -v[28:29]
	v_fma_f64 v[12:13], v[16:17], v[12:13], v[14:15]
	v_add_f64 v[16:17], v[8:9], -v[56:57]
	v_fma_f64 v[18:19], v[26:27], -0.5, v[30:31]
	v_add_f64 v[0:1], v[0:1], v[56:57]
	v_add_f64 v[14:15], v[2:3], -v[6:7]
	v_add_f64 v[20:21], v[12:13], -v[34:35]
	v_add_f64 v[24:25], v[8:9], v[12:13]
	v_fma_f64 v[4:5], v[22:23], s[2:3], v[18:19]
	v_fma_f64 v[18:19], v[22:23], s[18:19], v[18:19]
	v_add_f64 v[0:1], v[0:1], v[34:35]
	v_add_f64 v[38:39], v[34:35], -v[12:13]
	v_add_f64 v[8:9], v[8:9], -v[12:13]
	v_add_f64 v[16:17], v[16:17], v[20:21]
	v_fma_f64 v[20:21], v[24:25], -0.5, v[30:31]
	v_add_f64 v[24:25], v[2:3], v[6:7]
	v_add_f64 v[30:31], v[10:11], v[28:29]
	;; [unrolled: 1-line block ×3, first 2 shown]
	v_fma_f64 v[12:13], v[14:15], s[16:17], v[18:19]
	v_add_f64 v[18:19], v[56:57], -v[34:35]
	v_fma_f64 v[4:5], v[14:15], s[8:9], v[4:5]
	v_fma_f64 v[26:27], v[14:15], s[18:19], v[20:21]
	v_fma_f64 v[24:25], v[24:25], -0.5, v[32:33]
	v_fma_f64 v[30:31], v[30:31], -0.5, v[32:33]
	v_fma_f64 v[14:15], v[14:15], s[2:3], v[20:21]
	v_add_f64 v[20:21], v[58:59], v[2:3]
	v_add_f64 v[32:33], v[36:37], v[38:39]
	v_add_f64 v[36:37], v[10:11], -v[2:3]
	v_add_f64 v[38:39], v[28:29], -v[6:7]
	;; [unrolled: 1-line block ×3, first 2 shown]
	v_fma_f64 v[34:35], v[8:9], s[18:19], v[24:25]
	v_fma_f64 v[56:57], v[18:19], s[2:3], v[30:31]
	v_add_f64 v[10:11], v[6:7], -v[28:29]
	v_fma_f64 v[30:31], v[18:19], s[18:19], v[30:31]
	v_fma_f64 v[24:25], v[8:9], s[2:3], v[24:25]
	v_add_f64 v[6:7], v[20:21], v[6:7]
	v_fma_f64 v[26:27], v[22:23], s[8:9], v[26:27]
	v_fma_f64 v[14:15], v[22:23], s[16:17], v[14:15]
	;; [unrolled: 1-line block ×3, first 2 shown]
	v_add_f64 v[22:23], v[36:37], v[38:39]
	v_fma_f64 v[34:35], v[8:9], s[16:17], v[56:57]
	v_add_f64 v[10:11], v[2:3], v[10:11]
	v_fma_f64 v[30:31], v[8:9], s[8:9], v[30:31]
	v_fma_f64 v[24:25], v[18:19], s[8:9], v[24:25]
	v_add_f64 v[2:3], v[6:7], v[28:29]
	v_fma_f64 v[4:5], v[16:17], s[10:11], v[4:5]
	v_fma_f64 v[8:9], v[16:17], s[10:11], v[12:13]
	;; [unrolled: 1-line block ×8, first 2 shown]
	ds_write_b128 v81, v[0:3]
	ds_write_b128 v81, v[4:7] offset:560
	ds_write_b128 v81, v[12:15] offset:1120
	;; [unrolled: 1-line block ×4, first 2 shown]
	s_waitcnt lgkmcnt(0)
	s_barrier
	ds_read_b128 v[0:3], v78 offset:5600
	ds_read_b128 v[4:7], v78 offset:8400
	;; [unrolled: 1-line block ×4, first 2 shown]
	s_waitcnt lgkmcnt(3)
	v_mul_f64 v[16:17], v[50:51], v[2:3]
	s_waitcnt lgkmcnt(2)
	v_mul_f64 v[18:19], v[46:47], v[6:7]
	s_waitcnt lgkmcnt(1)
	v_mul_f64 v[22:23], v[54:55], v[8:9]
	v_mul_f64 v[20:21], v[54:55], v[10:11]
	v_fma_f64 v[24:25], v[48:49], v[0:1], v[16:17]
	v_fma_f64 v[26:27], v[44:45], v[4:5], v[18:19]
	ds_read_b128 v[16:19], v78
	s_waitcnt lgkmcnt(1)
	v_mul_f64 v[28:29], v[42:43], v[12:13]
	v_fma_f64 v[10:11], v[52:53], v[10:11], -v[22:23]
	v_fma_f64 v[8:9], v[52:53], v[8:9], v[20:21]
	v_mul_f64 v[0:1], v[50:51], v[0:1]
	v_mul_f64 v[4:5], v[46:47], v[4:5]
	v_add_f64 v[20:21], v[24:25], v[26:27]
	v_fma_f64 v[22:23], v[40:41], v[14:15], -v[28:29]
	v_mul_f64 v[14:15], v[42:43], v[14:15]
	v_add_f64 v[30:31], v[8:9], -v[24:25]
	v_fma_f64 v[2:3], v[48:49], v[2:3], -v[0:1]
	s_waitcnt lgkmcnt(0)
	v_add_f64 v[0:1], v[16:17], v[8:9]
	v_fma_f64 v[6:7], v[44:45], v[6:7], -v[4:5]
	v_fma_f64 v[20:21], v[20:21], -0.5, v[16:17]
	v_add_f64 v[42:43], v[18:19], v[10:11]
	v_add_f64 v[28:29], v[10:11], -v[22:23]
	v_fma_f64 v[12:13], v[40:41], v[12:13], v[14:15]
	v_add_f64 v[36:37], v[10:11], v[22:23]
	v_add_f64 v[38:39], v[24:25], -v[8:9]
	v_add_f64 v[0:1], v[0:1], v[24:25]
	v_add_f64 v[14:15], v[2:3], -v[6:7]
	v_fma_f64 v[4:5], v[28:29], s[2:3], v[20:21]
	v_add_f64 v[32:33], v[12:13], -v[26:27]
	v_add_f64 v[34:35], v[8:9], v[12:13]
	v_fma_f64 v[20:21], v[28:29], s[18:19], v[20:21]
	v_add_f64 v[0:1], v[0:1], v[26:27]
	v_add_f64 v[40:41], v[26:27], -v[12:13]
	v_add_f64 v[8:9], v[8:9], -v[12:13]
	v_fma_f64 v[4:5], v[14:15], s[8:9], v[4:5]
	v_add_f64 v[30:31], v[30:31], v[32:33]
	v_fma_f64 v[16:17], v[34:35], -0.5, v[16:17]
	v_add_f64 v[32:33], v[2:3], v[6:7]
	v_add_f64 v[0:1], v[0:1], v[12:13]
	v_fma_f64 v[12:13], v[14:15], s[16:17], v[20:21]
	v_add_f64 v[20:21], v[24:25], -v[26:27]
	v_add_f64 v[26:27], v[38:39], v[40:41]
	v_add_f64 v[38:39], v[22:23], -v[6:7]
	v_fma_f64 v[4:5], v[30:31], s[10:11], v[4:5]
	v_fma_f64 v[34:35], v[14:15], s[18:19], v[16:17]
	v_fma_f64 v[32:33], v[32:33], -0.5, v[18:19]
	v_fma_f64 v[18:19], v[36:37], -0.5, v[18:19]
	v_fma_f64 v[14:15], v[14:15], s[2:3], v[16:17]
	v_add_f64 v[16:17], v[42:43], v[2:3]
	v_add_f64 v[36:37], v[10:11], -v[2:3]
	v_add_f64 v[2:3], v[2:3], -v[10:11]
	;; [unrolled: 1-line block ×3, first 2 shown]
	v_fma_f64 v[24:25], v[28:29], s[8:9], v[34:35]
	v_fma_f64 v[34:35], v[8:9], s[18:19], v[32:33]
	;; [unrolled: 1-line block ×5, first 2 shown]
	v_add_f64 v[6:7], v[16:17], v[6:7]
	v_fma_f64 v[14:15], v[28:29], s[16:17], v[14:15]
	v_add_f64 v[10:11], v[2:3], v[10:11]
	v_fma_f64 v[28:29], v[20:21], s[16:17], v[34:35]
	v_add_f64 v[34:35], v[36:37], v[38:39]
	v_fma_f64 v[36:37], v[8:9], s[16:17], v[40:41]
	v_fma_f64 v[18:19], v[8:9], s[8:9], v[18:19]
	v_fma_f64 v[20:21], v[20:21], s[8:9], v[32:33]
	v_add_f64 v[2:3], v[6:7], v[22:23]
	v_fma_f64 v[8:9], v[30:31], s[10:11], v[12:13]
	v_fma_f64 v[12:13], v[26:27], s[10:11], v[24:25]
	;; [unrolled: 1-line block ×7, first 2 shown]
	ds_write_b128 v78, v[0:3]
	ds_write_b128 v78, v[4:7] offset:2800
	ds_write_b128 v78, v[12:15] offset:5600
	;; [unrolled: 1-line block ×4, first 2 shown]
	s_waitcnt lgkmcnt(0)
	s_barrier
	s_and_b64 exec, exec, s[0:1]
	s_cbranch_execz .LBB0_15
; %bb.14:
	v_mov_b32_e32 v0, s15
	v_add_co_u32_e32 v22, vcc, s14, v78
	v_addc_co_u32_e32 v23, vcc, 0, v0, vcc
	global_load_dwordx4 v[0:3], v78, s[14:15]
	global_load_dwordx4 v[4:7], v78, s[14:15] offset:2000
	global_load_dwordx4 v[8:11], v78, s[14:15] offset:4000
	s_movk_i32 s0, 0x1000
	v_add_co_u32_e32 v20, vcc, s0, v22
	v_addc_co_u32_e32 v21, vcc, 0, v23, vcc
	global_load_dwordx4 v[12:15], v[20:21], off offset:1904
	global_load_dwordx4 v[16:19], v[20:21], off offset:3904
	s_movk_i32 s0, 0x2000
	v_add_co_u32_e32 v24, vcc, s0, v22
	v_addc_co_u32_e32 v25, vcc, 0, v23, vcc
	global_load_dwordx4 v[20:23], v[24:25], off offset:1808
	v_mad_u64_u32 v[56:57], s[0:1], s6, v76, 0
	global_load_dwordx4 v[24:27], v[24:25], off offset:3808
	v_mad_u64_u32 v[58:59], s[2:3], s4, v77, 0
	s_mul_i32 s2, s5, 0x7d0
	s_mul_hi_u32 s3, s4, 0x7d0
	s_add_i32 s6, s3, s2
	v_mad_u64_u32 v[60:61], s[2:3], s7, v76, v[57:58]
	v_mov_b32_e32 v63, s13
	s_mulk_i32 s4, 0x7d0
	v_mad_u64_u32 v[61:62], s[2:3], s5, v77, v[59:60]
	v_mov_b32_e32 v57, v60
	v_lshlrev_b64 v[56:57], 4, v[56:57]
	v_mov_b32_e32 v59, v61
	v_lshlrev_b64 v[58:59], 4, v[58:59]
	v_add_co_u32_e32 v56, vcc, s12, v56
	v_addc_co_u32_e32 v57, vcc, v63, v57, vcc
	v_add_co_u32_e32 v56, vcc, v56, v58
	v_addc_co_u32_e32 v57, vcc, v57, v59, vcc
	v_mov_b32_e32 v64, s6
	v_add_co_u32_e32 v58, vcc, s4, v56
	ds_read_b128 v[28:31], v78
	ds_read_b128 v[32:35], v78 offset:2000
	v_addc_co_u32_e32 v59, vcc, v57, v64, vcc
	v_mov_b32_e32 v62, s6
	v_add_co_u32_e32 v60, vcc, s4, v58
	v_addc_co_u32_e32 v61, vcc, v59, v62, vcc
	v_mov_b32_e32 v65, s6
	v_add_co_u32_e32 v62, vcc, s4, v60
	v_addc_co_u32_e32 v63, vcc, v61, v65, vcc
	ds_read_b128 v[36:39], v78 offset:4000
	ds_read_b128 v[40:43], v78 offset:6000
	;; [unrolled: 1-line block ×5, first 2 shown]
	s_mov_b32 s0, 0x835d548e
	s_mov_b32 s1, 0x3f52b97d
	s_waitcnt vmcnt(6) lgkmcnt(6)
	v_mul_f64 v[64:65], v[30:31], v[2:3]
	v_mul_f64 v[2:3], v[28:29], v[2:3]
	s_waitcnt vmcnt(5) lgkmcnt(5)
	v_mul_f64 v[66:67], v[34:35], v[6:7]
	v_mul_f64 v[6:7], v[32:33], v[6:7]
	;; [unrolled: 3-line block ×3, first 2 shown]
	s_waitcnt vmcnt(3) lgkmcnt(3)
	v_mul_f64 v[70:71], v[42:43], v[14:15]
	v_fma_f64 v[28:29], v[28:29], v[0:1], v[64:65]
	v_fma_f64 v[2:3], v[0:1], v[30:31], -v[2:3]
	v_fma_f64 v[30:31], v[32:33], v[4:5], v[66:67]
	v_fma_f64 v[6:7], v[4:5], v[34:35], -v[6:7]
	;; [unrolled: 2-line block ×3, first 2 shown]
	v_mul_f64 v[14:15], v[40:41], v[14:15]
	s_waitcnt vmcnt(2) lgkmcnt(2)
	v_mul_f64 v[72:73], v[46:47], v[18:19]
	v_mul_f64 v[18:19], v[44:45], v[18:19]
	;; [unrolled: 1-line block ×8, first 2 shown]
	v_fma_f64 v[34:35], v[40:41], v[12:13], v[70:71]
	v_fma_f64 v[14:15], v[12:13], v[42:43], -v[14:15]
	s_waitcnt vmcnt(1) lgkmcnt(1)
	v_mul_f64 v[28:29], v[50:51], v[22:23]
	v_fma_f64 v[30:31], v[44:45], v[16:17], v[72:73]
	v_fma_f64 v[16:17], v[16:17], v[46:47], -v[18:19]
	global_store_dwordx4 v[56:57], v[0:3], off
	global_store_dwordx4 v[58:59], v[4:7], off
	;; [unrolled: 1-line block ×3, first 2 shown]
	v_mul_f64 v[4:5], v[48:49], v[22:23]
	s_waitcnt vmcnt(3) lgkmcnt(0)
	v_mul_f64 v[6:7], v[54:55], v[26:27]
	v_mul_f64 v[8:9], v[52:53], v[26:27]
	;; [unrolled: 1-line block ×6, first 2 shown]
	v_fma_f64 v[10:11], v[48:49], v[20:21], v[28:29]
	v_fma_f64 v[4:5], v[20:21], v[50:51], -v[4:5]
	v_fma_f64 v[6:7], v[52:53], v[24:25], v[6:7]
	v_fma_f64 v[8:9], v[24:25], v[54:55], -v[8:9]
	global_store_dwordx4 v[62:63], v[12:15], off
	s_nop 0
	v_mov_b32_e32 v13, s6
	v_add_co_u32_e32 v12, vcc, s4, v62
	v_addc_co_u32_e32 v13, vcc, v63, v13, vcc
	global_store_dwordx4 v[12:13], v[0:3], off
	s_nop 0
	v_mul_f64 v[0:1], v[10:11], s[0:1]
	v_mul_f64 v[2:3], v[4:5], s[0:1]
	;; [unrolled: 1-line block ×4, first 2 shown]
	v_mov_b32_e32 v10, s6
	v_add_co_u32_e32 v8, vcc, s4, v12
	v_addc_co_u32_e32 v9, vcc, v13, v10, vcc
	global_store_dwordx4 v[8:9], v[0:3], off
	s_nop 0
	v_mov_b32_e32 v1, s6
	v_add_co_u32_e32 v0, vcc, s4, v8
	v_addc_co_u32_e32 v1, vcc, v9, v1, vcc
	global_store_dwordx4 v[0:1], v[4:7], off
.LBB0_15:
	s_endpgm
	.section	.rodata,"a",@progbits
	.p2align	6, 0x0
	.amdhsa_kernel bluestein_single_fwd_len875_dim1_dp_op_CI_CI
		.amdhsa_group_segment_fixed_size 14000
		.amdhsa_private_segment_fixed_size 0
		.amdhsa_kernarg_size 104
		.amdhsa_user_sgpr_count 6
		.amdhsa_user_sgpr_private_segment_buffer 1
		.amdhsa_user_sgpr_dispatch_ptr 0
		.amdhsa_user_sgpr_queue_ptr 0
		.amdhsa_user_sgpr_kernarg_segment_ptr 1
		.amdhsa_user_sgpr_dispatch_id 0
		.amdhsa_user_sgpr_flat_scratch_init 0
		.amdhsa_user_sgpr_private_segment_size 0
		.amdhsa_uses_dynamic_stack 0
		.amdhsa_system_sgpr_private_segment_wavefront_offset 0
		.amdhsa_system_sgpr_workgroup_id_x 1
		.amdhsa_system_sgpr_workgroup_id_y 0
		.amdhsa_system_sgpr_workgroup_id_z 0
		.amdhsa_system_sgpr_workgroup_info 0
		.amdhsa_system_vgpr_workitem_id 0
		.amdhsa_next_free_vgpr 114
		.amdhsa_next_free_sgpr 24
		.amdhsa_reserve_vcc 1
		.amdhsa_reserve_flat_scratch 0
		.amdhsa_float_round_mode_32 0
		.amdhsa_float_round_mode_16_64 0
		.amdhsa_float_denorm_mode_32 3
		.amdhsa_float_denorm_mode_16_64 3
		.amdhsa_dx10_clamp 1
		.amdhsa_ieee_mode 1
		.amdhsa_fp16_overflow 0
		.amdhsa_exception_fp_ieee_invalid_op 0
		.amdhsa_exception_fp_denorm_src 0
		.amdhsa_exception_fp_ieee_div_zero 0
		.amdhsa_exception_fp_ieee_overflow 0
		.amdhsa_exception_fp_ieee_underflow 0
		.amdhsa_exception_fp_ieee_inexact 0
		.amdhsa_exception_int_div_zero 0
	.end_amdhsa_kernel
	.text
.Lfunc_end0:
	.size	bluestein_single_fwd_len875_dim1_dp_op_CI_CI, .Lfunc_end0-bluestein_single_fwd_len875_dim1_dp_op_CI_CI
                                        ; -- End function
	.section	.AMDGPU.csdata,"",@progbits
; Kernel info:
; codeLenInByte = 8464
; NumSgprs: 28
; NumVgprs: 114
; ScratchSize: 0
; MemoryBound: 0
; FloatMode: 240
; IeeeMode: 1
; LDSByteSize: 14000 bytes/workgroup (compile time only)
; SGPRBlocks: 3
; VGPRBlocks: 28
; NumSGPRsForWavesPerEU: 28
; NumVGPRsForWavesPerEU: 114
; Occupancy: 2
; WaveLimiterHint : 1
; COMPUTE_PGM_RSRC2:SCRATCH_EN: 0
; COMPUTE_PGM_RSRC2:USER_SGPR: 6
; COMPUTE_PGM_RSRC2:TRAP_HANDLER: 0
; COMPUTE_PGM_RSRC2:TGID_X_EN: 1
; COMPUTE_PGM_RSRC2:TGID_Y_EN: 0
; COMPUTE_PGM_RSRC2:TGID_Z_EN: 0
; COMPUTE_PGM_RSRC2:TIDIG_COMP_CNT: 0
	.type	__hip_cuid_7c14a3691aea9821,@object ; @__hip_cuid_7c14a3691aea9821
	.section	.bss,"aw",@nobits
	.globl	__hip_cuid_7c14a3691aea9821
__hip_cuid_7c14a3691aea9821:
	.byte	0                               ; 0x0
	.size	__hip_cuid_7c14a3691aea9821, 1

	.ident	"AMD clang version 19.0.0git (https://github.com/RadeonOpenCompute/llvm-project roc-6.4.0 25133 c7fe45cf4b819c5991fe208aaa96edf142730f1d)"
	.section	".note.GNU-stack","",@progbits
	.addrsig
	.addrsig_sym __hip_cuid_7c14a3691aea9821
	.amdgpu_metadata
---
amdhsa.kernels:
  - .args:
      - .actual_access:  read_only
        .address_space:  global
        .offset:         0
        .size:           8
        .value_kind:     global_buffer
      - .actual_access:  read_only
        .address_space:  global
        .offset:         8
        .size:           8
        .value_kind:     global_buffer
      - .actual_access:  read_only
        .address_space:  global
        .offset:         16
        .size:           8
        .value_kind:     global_buffer
      - .actual_access:  read_only
        .address_space:  global
        .offset:         24
        .size:           8
        .value_kind:     global_buffer
      - .actual_access:  read_only
        .address_space:  global
        .offset:         32
        .size:           8
        .value_kind:     global_buffer
      - .offset:         40
        .size:           8
        .value_kind:     by_value
      - .address_space:  global
        .offset:         48
        .size:           8
        .value_kind:     global_buffer
      - .address_space:  global
        .offset:         56
        .size:           8
        .value_kind:     global_buffer
      - .address_space:  global
        .offset:         64
        .size:           8
        .value_kind:     global_buffer
      - .address_space:  global
        .offset:         72
        .size:           8
        .value_kind:     global_buffer
      - .offset:         80
        .size:           4
        .value_kind:     by_value
      - .address_space:  global
        .offset:         88
        .size:           8
        .value_kind:     global_buffer
      - .address_space:  global
        .offset:         96
        .size:           8
        .value_kind:     global_buffer
    .group_segment_fixed_size: 14000
    .kernarg_segment_align: 8
    .kernarg_segment_size: 104
    .language:       OpenCL C
    .language_version:
      - 2
      - 0
    .max_flat_workgroup_size: 175
    .name:           bluestein_single_fwd_len875_dim1_dp_op_CI_CI
    .private_segment_fixed_size: 0
    .sgpr_count:     28
    .sgpr_spill_count: 0
    .symbol:         bluestein_single_fwd_len875_dim1_dp_op_CI_CI.kd
    .uniform_work_group_size: 1
    .uses_dynamic_stack: false
    .vgpr_count:     114
    .vgpr_spill_count: 0
    .wavefront_size: 64
amdhsa.target:   amdgcn-amd-amdhsa--gfx906
amdhsa.version:
  - 1
  - 2
...

	.end_amdgpu_metadata
